;; amdgpu-corpus repo=ROCm/rocFFT kind=compiled arch=gfx1030 opt=O3
	.text
	.amdgcn_target "amdgcn-amd-amdhsa--gfx1030"
	.amdhsa_code_object_version 6
	.protected	fft_rtc_back_len784_factors_2_2_2_2_7_7_wgs_56_tpt_56_halfLds_dp_ip_CI_unitstride_sbrr_dirReg ; -- Begin function fft_rtc_back_len784_factors_2_2_2_2_7_7_wgs_56_tpt_56_halfLds_dp_ip_CI_unitstride_sbrr_dirReg
	.globl	fft_rtc_back_len784_factors_2_2_2_2_7_7_wgs_56_tpt_56_halfLds_dp_ip_CI_unitstride_sbrr_dirReg
	.p2align	8
	.type	fft_rtc_back_len784_factors_2_2_2_2_7_7_wgs_56_tpt_56_halfLds_dp_ip_CI_unitstride_sbrr_dirReg,@function
fft_rtc_back_len784_factors_2_2_2_2_7_7_wgs_56_tpt_56_halfLds_dp_ip_CI_unitstride_sbrr_dirReg: ; @fft_rtc_back_len784_factors_2_2_2_2_7_7_wgs_56_tpt_56_halfLds_dp_ip_CI_unitstride_sbrr_dirReg
; %bb.0:
	s_clause 0x2
	s_load_dwordx4 s[8:11], s[4:5], 0x0
	s_load_dwordx2 s[2:3], s[4:5], 0x50
	s_load_dwordx2 s[12:13], s[4:5], 0x18
	v_mul_u32_u24_e32 v1, 0x493, v0
	v_mov_b32_e32 v3, 0
	v_add_nc_u32_sdwa v5, s6, v1 dst_sel:DWORD dst_unused:UNUSED_PAD src0_sel:DWORD src1_sel:WORD_1
	v_mov_b32_e32 v1, 0
	v_mov_b32_e32 v6, v3
	v_mov_b32_e32 v2, 0
	s_waitcnt lgkmcnt(0)
	v_cmp_lt_u64_e64 s0, s[10:11], 2
	s_and_b32 vcc_lo, exec_lo, s0
	s_cbranch_vccnz .LBB0_8
; %bb.1:
	s_load_dwordx2 s[0:1], s[4:5], 0x10
	v_mov_b32_e32 v1, 0
	s_add_u32 s6, s12, 8
	v_mov_b32_e32 v2, 0
	s_addc_u32 s7, s13, 0
	s_mov_b64 s[16:17], 1
	s_waitcnt lgkmcnt(0)
	s_add_u32 s14, s0, 8
	s_addc_u32 s15, s1, 0
.LBB0_2:                                ; =>This Inner Loop Header: Depth=1
	s_load_dwordx2 s[18:19], s[14:15], 0x0
                                        ; implicit-def: $vgpr7_vgpr8
	s_mov_b32 s0, exec_lo
	s_waitcnt lgkmcnt(0)
	v_or_b32_e32 v4, s19, v6
	v_cmpx_ne_u64_e32 0, v[3:4]
	s_xor_b32 s1, exec_lo, s0
	s_cbranch_execz .LBB0_4
; %bb.3:                                ;   in Loop: Header=BB0_2 Depth=1
	v_cvt_f32_u32_e32 v4, s18
	v_cvt_f32_u32_e32 v7, s19
	s_sub_u32 s0, 0, s18
	s_subb_u32 s20, 0, s19
	v_fmac_f32_e32 v4, 0x4f800000, v7
	v_rcp_f32_e32 v4, v4
	v_mul_f32_e32 v4, 0x5f7ffffc, v4
	v_mul_f32_e32 v7, 0x2f800000, v4
	v_trunc_f32_e32 v7, v7
	v_fmac_f32_e32 v4, 0xcf800000, v7
	v_cvt_u32_f32_e32 v7, v7
	v_cvt_u32_f32_e32 v4, v4
	v_mul_lo_u32 v8, s0, v7
	v_mul_hi_u32 v9, s0, v4
	v_mul_lo_u32 v10, s20, v4
	v_add_nc_u32_e32 v8, v9, v8
	v_mul_lo_u32 v9, s0, v4
	v_add_nc_u32_e32 v8, v8, v10
	v_mul_hi_u32 v10, v4, v9
	v_mul_lo_u32 v11, v4, v8
	v_mul_hi_u32 v12, v4, v8
	v_mul_hi_u32 v13, v7, v9
	v_mul_lo_u32 v9, v7, v9
	v_mul_hi_u32 v14, v7, v8
	v_mul_lo_u32 v8, v7, v8
	v_add_co_u32 v10, vcc_lo, v10, v11
	v_add_co_ci_u32_e32 v11, vcc_lo, 0, v12, vcc_lo
	v_add_co_u32 v9, vcc_lo, v10, v9
	v_add_co_ci_u32_e32 v9, vcc_lo, v11, v13, vcc_lo
	v_add_co_ci_u32_e32 v10, vcc_lo, 0, v14, vcc_lo
	v_add_co_u32 v8, vcc_lo, v9, v8
	v_add_co_ci_u32_e32 v9, vcc_lo, 0, v10, vcc_lo
	v_add_co_u32 v4, vcc_lo, v4, v8
	v_add_co_ci_u32_e32 v7, vcc_lo, v7, v9, vcc_lo
	v_mul_hi_u32 v8, s0, v4
	v_mul_lo_u32 v10, s20, v4
	v_mul_lo_u32 v9, s0, v7
	v_add_nc_u32_e32 v8, v8, v9
	v_mul_lo_u32 v9, s0, v4
	v_add_nc_u32_e32 v8, v8, v10
	v_mul_hi_u32 v10, v4, v9
	v_mul_lo_u32 v11, v4, v8
	v_mul_hi_u32 v12, v4, v8
	v_mul_hi_u32 v13, v7, v9
	v_mul_lo_u32 v9, v7, v9
	v_mul_hi_u32 v14, v7, v8
	v_mul_lo_u32 v8, v7, v8
	v_add_co_u32 v10, vcc_lo, v10, v11
	v_add_co_ci_u32_e32 v11, vcc_lo, 0, v12, vcc_lo
	v_add_co_u32 v9, vcc_lo, v10, v9
	v_add_co_ci_u32_e32 v9, vcc_lo, v11, v13, vcc_lo
	v_add_co_ci_u32_e32 v10, vcc_lo, 0, v14, vcc_lo
	v_add_co_u32 v8, vcc_lo, v9, v8
	v_add_co_ci_u32_e32 v9, vcc_lo, 0, v10, vcc_lo
	v_add_co_u32 v4, vcc_lo, v4, v8
	v_add_co_ci_u32_e32 v11, vcc_lo, v7, v9, vcc_lo
	v_mul_hi_u32 v13, v5, v4
	v_mad_u64_u32 v[9:10], null, v6, v4, 0
	v_mad_u64_u32 v[7:8], null, v5, v11, 0
	;; [unrolled: 1-line block ×3, first 2 shown]
	v_add_co_u32 v4, vcc_lo, v13, v7
	v_add_co_ci_u32_e32 v7, vcc_lo, 0, v8, vcc_lo
	v_add_co_u32 v4, vcc_lo, v4, v9
	v_add_co_ci_u32_e32 v4, vcc_lo, v7, v10, vcc_lo
	v_add_co_ci_u32_e32 v7, vcc_lo, 0, v12, vcc_lo
	v_add_co_u32 v4, vcc_lo, v4, v11
	v_add_co_ci_u32_e32 v9, vcc_lo, 0, v7, vcc_lo
	v_mul_lo_u32 v10, s19, v4
	v_mad_u64_u32 v[7:8], null, s18, v4, 0
	v_mul_lo_u32 v11, s18, v9
	v_sub_co_u32 v7, vcc_lo, v5, v7
	v_add3_u32 v8, v8, v11, v10
	v_sub_nc_u32_e32 v10, v6, v8
	v_subrev_co_ci_u32_e64 v10, s0, s19, v10, vcc_lo
	v_add_co_u32 v11, s0, v4, 2
	v_add_co_ci_u32_e64 v12, s0, 0, v9, s0
	v_sub_co_u32 v13, s0, v7, s18
	v_sub_co_ci_u32_e32 v8, vcc_lo, v6, v8, vcc_lo
	v_subrev_co_ci_u32_e64 v10, s0, 0, v10, s0
	v_cmp_le_u32_e32 vcc_lo, s18, v13
	v_cmp_eq_u32_e64 s0, s19, v8
	v_cndmask_b32_e64 v13, 0, -1, vcc_lo
	v_cmp_le_u32_e32 vcc_lo, s19, v10
	v_cndmask_b32_e64 v14, 0, -1, vcc_lo
	v_cmp_le_u32_e32 vcc_lo, s18, v7
	;; [unrolled: 2-line block ×3, first 2 shown]
	v_cndmask_b32_e64 v15, 0, -1, vcc_lo
	v_cmp_eq_u32_e32 vcc_lo, s19, v10
	v_cndmask_b32_e64 v7, v15, v7, s0
	v_cndmask_b32_e32 v10, v14, v13, vcc_lo
	v_add_co_u32 v13, vcc_lo, v4, 1
	v_add_co_ci_u32_e32 v14, vcc_lo, 0, v9, vcc_lo
	v_cmp_ne_u32_e32 vcc_lo, 0, v10
	v_cndmask_b32_e32 v8, v14, v12, vcc_lo
	v_cndmask_b32_e32 v10, v13, v11, vcc_lo
	v_cmp_ne_u32_e32 vcc_lo, 0, v7
	v_cndmask_b32_e32 v8, v9, v8, vcc_lo
	v_cndmask_b32_e32 v7, v4, v10, vcc_lo
.LBB0_4:                                ;   in Loop: Header=BB0_2 Depth=1
	s_andn2_saveexec_b32 s0, s1
	s_cbranch_execz .LBB0_6
; %bb.5:                                ;   in Loop: Header=BB0_2 Depth=1
	v_cvt_f32_u32_e32 v4, s18
	s_sub_i32 s1, 0, s18
	v_rcp_iflag_f32_e32 v4, v4
	v_mul_f32_e32 v4, 0x4f7ffffe, v4
	v_cvt_u32_f32_e32 v4, v4
	v_mul_lo_u32 v7, s1, v4
	v_mul_hi_u32 v7, v4, v7
	v_add_nc_u32_e32 v4, v4, v7
	v_mul_hi_u32 v4, v5, v4
	v_mul_lo_u32 v7, v4, s18
	v_add_nc_u32_e32 v8, 1, v4
	v_sub_nc_u32_e32 v7, v5, v7
	v_subrev_nc_u32_e32 v9, s18, v7
	v_cmp_le_u32_e32 vcc_lo, s18, v7
	v_cndmask_b32_e32 v7, v7, v9, vcc_lo
	v_cndmask_b32_e32 v4, v4, v8, vcc_lo
	v_cmp_le_u32_e32 vcc_lo, s18, v7
	v_add_nc_u32_e32 v8, 1, v4
	v_cndmask_b32_e32 v7, v4, v8, vcc_lo
	v_mov_b32_e32 v8, v3
.LBB0_6:                                ;   in Loop: Header=BB0_2 Depth=1
	s_or_b32 exec_lo, exec_lo, s0
	s_load_dwordx2 s[0:1], s[6:7], 0x0
	v_mul_lo_u32 v4, v8, s18
	v_mul_lo_u32 v11, v7, s19
	v_mad_u64_u32 v[9:10], null, v7, s18, 0
	s_add_u32 s16, s16, 1
	s_addc_u32 s17, s17, 0
	s_add_u32 s6, s6, 8
	s_addc_u32 s7, s7, 0
	;; [unrolled: 2-line block ×3, first 2 shown]
	v_add3_u32 v4, v10, v11, v4
	v_sub_co_u32 v5, vcc_lo, v5, v9
	v_sub_co_ci_u32_e32 v4, vcc_lo, v6, v4, vcc_lo
	s_waitcnt lgkmcnt(0)
	v_mul_lo_u32 v6, s1, v5
	v_mul_lo_u32 v4, s0, v4
	v_mad_u64_u32 v[1:2], null, s0, v5, v[1:2]
	v_cmp_ge_u64_e64 s0, s[16:17], s[10:11]
	s_and_b32 vcc_lo, exec_lo, s0
	v_add3_u32 v2, v6, v2, v4
	s_cbranch_vccnz .LBB0_9
; %bb.7:                                ;   in Loop: Header=BB0_2 Depth=1
	v_mov_b32_e32 v5, v7
	v_mov_b32_e32 v6, v8
	s_branch .LBB0_2
.LBB0_8:
	v_mov_b32_e32 v8, v6
	v_mov_b32_e32 v7, v5
.LBB0_9:
	s_lshl_b64 s[0:1], s[10:11], 3
	v_mul_hi_u32 v5, 0x4924925, v0
	s_add_u32 s0, s12, s0
	s_addc_u32 s1, s13, s1
                                        ; implicit-def: $vgpr50_vgpr51
                                        ; implicit-def: $vgpr34_vgpr35
                                        ; implicit-def: $vgpr46_vgpr47
                                        ; implicit-def: $vgpr26_vgpr27
                                        ; implicit-def: $vgpr38_vgpr39
                                        ; implicit-def: $vgpr22_vgpr23
                                        ; implicit-def: $vgpr42_vgpr43
                                        ; implicit-def: $vgpr10_vgpr11
                                        ; implicit-def: $vgpr14_vgpr15
                                        ; implicit-def: $vgpr18_vgpr19
                                        ; implicit-def: $vgpr54_vgpr55
                                        ; implicit-def: $vgpr30_vgpr31
	s_load_dwordx2 s[0:1], s[0:1], 0x0
	s_load_dwordx2 s[4:5], s[4:5], 0x20
	s_waitcnt lgkmcnt(0)
	v_mul_lo_u32 v3, s0, v8
	v_mul_lo_u32 v4, s1, v7
	v_mad_u64_u32 v[1:2], null, s0, v7, v[1:2]
	v_cmp_gt_u64_e32 vcc_lo, s[4:5], v[7:8]
                                        ; implicit-def: $vgpr6_vgpr7
	v_add3_u32 v2, v4, v2, v3
	v_mul_u32_u24_e32 v3, 56, v5
	v_lshlrev_b64 v[58:59], 4, v[1:2]
	v_sub_nc_u32_e32 v56, v0, v3
                                        ; implicit-def: $vgpr2_vgpr3
	s_and_saveexec_b32 s1, vcc_lo
	s_cbranch_execz .LBB0_11
; %bb.10:
	v_mov_b32_e32 v57, 0
	v_add_co_u32 v4, s0, s2, v58
	v_add_co_ci_u32_e64 v5, s0, s3, v59, s0
	v_lshlrev_b64 v[0:1], 4, v[56:57]
	v_or_b32_e32 v2, 0x1c0, v56
	v_mov_b32_e32 v3, v57
	v_add_co_u32 v24, s0, v4, v0
	v_add_co_ci_u32_e64 v25, s0, v5, v1, s0
	v_lshlrev_b64 v[0:1], 4, v[2:3]
	v_add_co_u32 v8, s0, 0x1800, v24
	v_add_co_ci_u32_e64 v9, s0, 0, v25, s0
	v_add_co_u32 v10, s0, v4, v0
	v_add_co_ci_u32_e64 v11, s0, v5, v1, s0
	;; [unrolled: 2-line block ×6, first 2 shown]
	s_clause 0xd
	global_load_dwordx4 v[28:31], v[24:25], off
	global_load_dwordx4 v[0:3], v[24:25], off offset:896
	global_load_dwordx4 v[52:55], v[8:9], off offset:128
	global_load_dwordx4 v[4:7], v[24:25], off offset:1792
	global_load_dwordx4 v[16:19], v[10:11], off
	global_load_dwordx4 v[12:15], v[8:9], off offset:1920
	global_load_dwordx4 v[8:11], v[20:21], off offset:640
	;; [unrolled: 1-line block ×9, first 2 shown]
.LBB0_11:
	s_or_b32 exec_lo, exec_lo, s1
	s_waitcnt vmcnt(5)
	v_add_f64 v[80:81], v[8:9], -v[40:41]
	v_add_f64 v[76:77], v[4:5], -v[12:13]
	s_waitcnt vmcnt(4)
	v_add_f64 v[84:85], v[20:21], -v[36:37]
	s_waitcnt vmcnt(1)
	v_add_f64 v[88:89], v[24:25], -v[44:45]
	v_add_f64 v[62:63], v[28:29], -v[52:53]
	;; [unrolled: 1-line block ×3, first 2 shown]
	s_waitcnt vmcnt(0)
	v_add_f64 v[92:93], v[32:33], -v[48:49]
	v_add_f64 v[54:55], v[30:31], -v[54:55]
	;; [unrolled: 1-line block ×4, first 2 shown]
	v_add_nc_u32_e32 v73, 56, v56
	v_add_nc_u32_e32 v94, 0x70, v56
	v_lshl_add_u32 v68, v56, 4, 0
	v_add_nc_u32_e32 v95, 0xa8, v56
	v_add_nc_u32_e32 v96, 0xe0, v56
	;; [unrolled: 1-line block ×4, first 2 shown]
	s_mov_b32 s16, 0xe976ee23
	s_mov_b32 s0, 0x429ad128
	s_mov_b32 s12, 0x37e14327
	v_lshl_add_u32 v69, v97, 4, 0
	v_lshl_add_u32 v99, v98, 4, 0
	v_fma_f64 v[78:79], v[8:9], 2.0, -v[80:81]
	v_add_f64 v[8:9], v[6:7], -v[14:15]
	v_fma_f64 v[74:75], v[4:5], 2.0, -v[76:77]
	v_add_f64 v[4:5], v[2:3], -v[18:19]
	;; [unrolled: 2-line block ×4, first 2 shown]
	v_fma_f64 v[60:61], v[28:29], 2.0, -v[62:63]
	v_fma_f64 v[64:65], v[0:1], 2.0, -v[66:67]
	;; [unrolled: 1-line block ×6, first 2 shown]
	v_lshlrev_b32_e32 v0, 3, v56
	v_lshl_add_u32 v1, v73, 4, 0
	v_lshl_add_u32 v50, v94, 4, 0
	;; [unrolled: 1-line block ×3, first 2 shown]
	s_mov_b32 s20, 0x36b3c0b5
	v_sub_nc_u32_e32 v70, v68, v0
	v_lshl_add_u32 v0, v96, 4, 0
	s_mov_b32 s17, 0x3fe11646
	s_mov_b32 s1, 0xbfebfeb5
	v_fma_f64 v[6:7], v[6:7], 2.0, -v[8:9]
	v_add_nc_u32_e32 v57, 0x800, v70
	v_fma_f64 v[2:3], v[2:3], 2.0, -v[4:5]
	v_add_nc_u32_e32 v72, 0x1000, v70
	;; [unrolled: 2-line block ×3, first 2 shown]
	v_fma_f64 v[22:23], v[34:35], 2.0, -v[24:25]
	ds_write_b128 v68, v[60:63]
	ds_write_b128 v1, v[64:67]
	;; [unrolled: 1-line block ×7, first 2 shown]
	v_and_b32_e32 v90, 1, v56
	s_waitcnt lgkmcnt(0)
	s_barrier
	buffer_gl0_inv
	ds_read2_b64 v[26:29], v70 offset1:56
	ds_read2_b64 v[30:33], v57 offset0:80 offset1:136
	ds_read2_b64 v[34:37], v57 offset0:192 offset1:248
	;; [unrolled: 1-line block ×6, first 2 shown]
	s_waitcnt lgkmcnt(0)
	s_barrier
	buffer_gl0_inv
	v_and_b32_e32 v91, 3, v56
	s_mov_b32 s13, 0x3fe948f6
	ds_write_b128 v68, v[52:55]
	ds_write_b128 v1, v[2:5]
	;; [unrolled: 1-line block ×6, first 2 shown]
	v_lshlrev_b32_e32 v0, 4, v90
	v_lshlrev_b32_e32 v92, 4, v91
	s_mov_b32 s21, 0x3fac98ee
	ds_write_b128 v99, v[22:25]
	s_waitcnt lgkmcnt(0)
	s_barrier
	buffer_gl0_inv
	global_load_dwordx4 v[7:10], v0, s[8:9]
	ds_read2_b64 v[11:14], v57 offset0:192 offset1:248
	ds_read2_b64 v[15:18], v57 offset0:80 offset1:136
	;; [unrolled: 1-line block ×4, first 2 shown]
	v_lshlrev_b32_e32 v0, 1, v56
	s_mov_b32 s4, 0xb247c609
	s_mov_b32 s10, 0x5476071b
	;; [unrolled: 1-line block ×4, first 2 shown]
	v_and_or_b32 v25, 0x7c, v0, v90
	s_mov_b32 s7, 0x3fd5d0dc
	s_mov_b32 s11, 0x3fe77f67
	;; [unrolled: 1-line block ×8, first 2 shown]
	s_waitcnt vmcnt(0) lgkmcnt(3)
	v_mul_f64 v[3:4], v[13:14], v[9:10]
	s_waitcnt lgkmcnt(2)
	v_mul_f64 v[5:6], v[17:18], v[9:10]
	v_mul_f64 v[76:77], v[32:33], v[9:10]
	;; [unrolled: 1-line block ×3, first 2 shown]
	s_waitcnt lgkmcnt(1)
	v_mul_f64 v[23:24], v[19:20], v[9:10]
	s_waitcnt lgkmcnt(0)
	v_mul_f64 v[64:65], v[50:51], v[9:10]
	v_mul_f64 v[68:69], v[34:35], v[9:10]
	;; [unrolled: 1-line block ×9, first 2 shown]
	v_fma_f64 v[36:37], v[36:37], v[7:8], v[3:4]
	v_fma_f64 v[88:89], v[32:33], v[7:8], v[5:6]
	v_fma_f64 v[17:18], v[17:18], v[7:8], -v[76:77]
	v_fma_f64 v[86:87], v[34:35], v[7:8], v[1:2]
	v_fma_f64 v[23:24], v[42:43], v[7:8], v[23:24]
	;; [unrolled: 1-line block ×3, first 2 shown]
	v_fma_f64 v[64:65], v[11:12], v[7:8], -v[68:69]
	v_fma_f64 v[13:14], v[13:14], v[7:8], -v[74:75]
	v_fma_f64 v[54:55], v[44:45], v[7:8], v[54:55]
	ds_read2_b64 v[32:35], v70 offset1:56
	ds_read2_b64 v[42:45], v70 offset0:112 offset1:168
	v_fma_f64 v[19:20], v[19:20], v[7:8], -v[78:79]
	v_fma_f64 v[21:22], v[21:22], v[7:8], -v[80:81]
	;; [unrolled: 1-line block ×3, first 2 shown]
	v_fma_f64 v[62:63], v[62:63], v[7:8], v[66:67]
	ds_read2_b64 v[9:12], v71 offset0:96 offset1:152
	v_fma_f64 v[7:8], v[52:53], v[7:8], -v[84:85]
	v_lshlrev_b32_e32 v1, 1, v73
	v_lshlrev_b32_e32 v2, 1, v94
	;; [unrolled: 1-line block ×3, first 2 shown]
	v_lshl_add_u32 v84, v25, 3, 0
	v_lshlrev_b32_e32 v4, 1, v96
	v_and_or_b32 v25, 0xfc, v1, v90
	v_add_f64 v[36:37], v[38:39], -v[36:37]
	v_add_f64 v[52:53], v[26:27], -v[88:89]
	v_lshlrev_b32_e32 v5, 1, v97
	v_add_f64 v[66:67], v[28:29], -v[86:87]
	v_add_f64 v[23:24], v[40:41], -v[23:24]
	;; [unrolled: 1-line block ×3, first 2 shown]
	s_waitcnt lgkmcnt(2)
	v_add_f64 v[68:69], v[32:33], -v[17:18]
	v_add_f64 v[64:65], v[34:35], -v[64:65]
	s_waitcnt lgkmcnt(1)
	v_add_f64 v[74:75], v[42:43], -v[13:14]
	v_add_f64 v[54:55], v[46:47], -v[54:55]
	;; [unrolled: 1-line block ×3, first 2 shown]
	v_lshlrev_b32_e32 v6, 1, v98
	s_waitcnt lgkmcnt(0)
	v_add_f64 v[78:79], v[9:10], -v[21:22]
	v_add_f64 v[50:51], v[11:12], -v[50:51]
	;; [unrolled: 1-line block ×4, first 2 shown]
	v_and_or_b32 v82, 0x1fc, v2, v90
	v_and_or_b32 v83, 0x1fc, v3, v90
	v_lshl_add_u32 v88, v25, 3, 0
	v_and_or_b32 v85, 0x3fc, v4, v90
	v_and_or_b32 v86, 0x2fc, v5, v90
	;; [unrolled: 1-line block ×3, first 2 shown]
	v_fma_f64 v[17:18], v[38:39], 2.0, -v[36:37]
	v_fma_f64 v[7:8], v[26:27], 2.0, -v[52:53]
	v_lshl_add_u32 v89, v82, 3, 0
	v_fma_f64 v[13:14], v[28:29], 2.0, -v[66:67]
	v_fma_f64 v[19:20], v[40:41], 2.0, -v[23:24]
	;; [unrolled: 1-line block ×8, first 2 shown]
	v_lshl_add_u32 v90, v83, 3, 0
	v_fma_f64 v[46:47], v[9:10], 2.0, -v[78:79]
	v_fma_f64 v[48:49], v[11:12], 2.0, -v[50:51]
	;; [unrolled: 1-line block ×4, first 2 shown]
	v_lshl_add_u32 v85, v85, 3, 0
	v_lshl_add_u32 v86, v86, 3, 0
	;; [unrolled: 1-line block ×3, first 2 shown]
	s_barrier
	buffer_gl0_inv
	ds_write2_b64 v84, v[7:8], v[52:53] offset1:2
	ds_write2_b64 v88, v[13:14], v[66:67] offset1:2
	ds_write2_b64 v89, v[17:18], v[36:37] offset1:2
	ds_write2_b64 v90, v[19:20], v[23:24] offset1:2
	ds_write2_b64 v85, v[21:22], v[54:55] offset1:2
	ds_write2_b64 v86, v[25:26], v[60:61] offset1:2
	ds_write2_b64 v87, v[27:28], v[62:63] offset1:2
	s_waitcnt lgkmcnt(0)
	s_barrier
	buffer_gl0_inv
	ds_read2_b64 v[7:10], v70 offset1:56
	ds_read2_b64 v[11:14], v57 offset0:80 offset1:136
	ds_read2_b64 v[15:18], v57 offset0:192 offset1:248
	;; [unrolled: 1-line block ×6, first 2 shown]
	s_waitcnt lgkmcnt(0)
	s_barrier
	buffer_gl0_inv
	ds_write2_b64 v84, v[38:39], v[68:69] offset1:2
	ds_write2_b64 v88, v[40:41], v[64:65] offset1:2
	;; [unrolled: 1-line block ×7, first 2 shown]
	s_waitcnt lgkmcnt(0)
	s_barrier
	buffer_gl0_inv
	global_load_dwordx4 v[35:38], v92, s[8:9] offset:32
	ds_read2_b64 v[39:42], v57 offset0:80 offset1:136
	ds_read2_b64 v[43:46], v57 offset0:192 offset1:248
	;; [unrolled: 1-line block ×4, first 2 shown]
	v_and_b32_e32 v55, 7, v56
	v_lshlrev_b32_e32 v90, 4, v55
	s_waitcnt vmcnt(0) lgkmcnt(3)
	v_mul_f64 v[60:61], v[41:42], v[37:38]
	v_mul_f64 v[80:81], v[13:14], v[37:38]
	s_waitcnt lgkmcnt(2)
	v_mul_f64 v[62:63], v[43:44], v[37:38]
	v_mul_f64 v[78:79], v[15:16], v[37:38]
	v_mul_f64 v[64:65], v[45:46], v[37:38]
	v_mul_f64 v[82:83], v[17:18], v[37:38]
	s_waitcnt lgkmcnt(1)
	v_mul_f64 v[66:67], v[47:48], v[37:38]
	v_mul_f64 v[68:69], v[49:50], v[37:38]
	;; [unrolled: 5-line block ×3, first 2 shown]
	v_mul_f64 v[76:77], v[53:54], v[37:38]
	v_mul_f64 v[37:38], v[33:34], v[37:38]
	v_fma_f64 v[60:61], v[13:14], v[35:36], v[60:61]
	v_fma_f64 v[41:42], v[41:42], v[35:36], -v[80:81]
	v_fma_f64 v[62:63], v[15:16], v[35:36], v[62:63]
	v_fma_f64 v[43:44], v[43:44], v[35:36], -v[78:79]
	;; [unrolled: 2-line block ×3, first 2 shown]
	v_fma_f64 v[64:65], v[23:24], v[35:36], v[66:67]
	v_fma_f64 v[66:67], v[25:26], v[35:36], v[68:69]
	ds_read2_b64 v[13:16], v70 offset1:56
	ds_read2_b64 v[23:26], v70 offset0:112 offset1:168
	v_fma_f64 v[47:48], v[47:48], v[35:36], -v[84:85]
	v_fma_f64 v[49:50], v[49:50], v[35:36], -v[86:87]
	v_fma_f64 v[68:69], v[31:32], v[35:36], v[74:75]
	v_fma_f64 v[51:52], v[51:52], v[35:36], -v[88:89]
	v_fma_f64 v[74:75], v[33:34], v[35:36], v[76:77]
	ds_read2_b64 v[31:34], v71 offset0:96 offset1:152
	v_fma_f64 v[35:36], v[53:54], v[35:36], -v[37:38]
	v_and_or_b32 v76, 0x78, v0, v91
	v_and_or_b32 v77, 0x3f8, v6, v91
	s_waitcnt lgkmcnt(0)
	s_barrier
	buffer_gl0_inv
	v_lshl_add_u32 v84, v76, 3, 0
	v_add_f64 v[37:38], v[7:8], -v[60:61]
	v_and_or_b32 v76, 0x2f8, v5, v91
	v_add_f64 v[53:54], v[9:10], -v[62:63]
	v_and_or_b32 v0, 0x70, v0, v55
	v_add_f64 v[17:18], v[19:20], -v[17:18]
	v_add_f64 v[41:42], v[13:14], -v[41:42]
	;; [unrolled: 1-line block ×12, first 2 shown]
	v_and_or_b32 v68, 0xf8, v1, v91
	v_and_or_b32 v69, 0x1f8, v2, v91
	;; [unrolled: 1-line block ×4, first 2 shown]
	v_lshl_add_u32 v89, v76, 3, 0
	v_lshl_add_u32 v85, v68, 3, 0
	v_fma_f64 v[7:8], v[7:8], 2.0, -v[37:38]
	v_lshl_add_u32 v86, v69, 3, 0
	v_fma_f64 v[9:10], v[9:10], 2.0, -v[53:54]
	v_lshl_add_u32 v87, v74, 3, 0
	v_lshl_add_u32 v88, v75, 3, 0
	v_fma_f64 v[68:69], v[13:14], 2.0, -v[41:42]
	v_fma_f64 v[74:75], v[15:16], 2.0, -v[43:44]
	v_fma_f64 v[19:20], v[19:20], 2.0, -v[17:18]
	v_lshl_add_u32 v91, v77, 3, 0
	v_fma_f64 v[76:77], v[23:24], 2.0, -v[45:46]
	v_fma_f64 v[21:22], v[21:22], 2.0, -v[60:61]
	;; [unrolled: 1-line block ×9, first 2 shown]
	ds_write2_b64 v84, v[7:8], v[37:38] offset1:4
	ds_write2_b64 v85, v[9:10], v[53:54] offset1:4
	;; [unrolled: 1-line block ×7, first 2 shown]
	s_waitcnt lgkmcnt(0)
	s_barrier
	buffer_gl0_inv
	ds_read2_b64 v[7:10], v70 offset1:56
	ds_read2_b64 v[11:14], v57 offset0:80 offset1:136
	ds_read2_b64 v[15:18], v57 offset0:192 offset1:248
	;; [unrolled: 1-line block ×6, first 2 shown]
	s_waitcnt lgkmcnt(0)
	s_barrier
	buffer_gl0_inv
	ds_write2_b64 v84, v[68:69], v[41:42] offset1:4
	ds_write2_b64 v85, v[74:75], v[43:44] offset1:4
	;; [unrolled: 1-line block ×7, first 2 shown]
	s_waitcnt lgkmcnt(0)
	s_barrier
	buffer_gl0_inv
	global_load_dwordx4 v[35:38], v90, s[8:9] offset:96
	ds_read2_b64 v[39:42], v57 offset0:80 offset1:136
	ds_read2_b64 v[43:46], v57 offset0:192 offset1:248
	;; [unrolled: 1-line block ×4, first 2 shown]
	v_and_b32_e32 v74, 15, v56
	v_lshl_add_u32 v91, v0, 3, 0
	v_and_or_b32 v0, 0xf0, v1, v55
	s_waitcnt vmcnt(0) lgkmcnt(3)
	v_mul_f64 v[60:61], v[41:42], v[37:38]
	s_waitcnt lgkmcnt(2)
	v_mul_f64 v[64:65], v[45:46], v[37:38]
	s_waitcnt lgkmcnt(1)
	v_mul_f64 v[66:67], v[47:48], v[37:38]
	v_mul_f64 v[81:82], v[13:14], v[37:38]
	;; [unrolled: 1-line block ×8, first 2 shown]
	s_waitcnt lgkmcnt(0)
	v_mul_f64 v[75:76], v[51:52], v[37:38]
	v_mul_f64 v[89:90], v[31:32], v[37:38]
	;; [unrolled: 1-line block ×4, first 2 shown]
	v_fma_f64 v[60:61], v[13:14], v[35:36], v[60:61]
	v_fma_f64 v[17:18], v[17:18], v[35:36], v[64:65]
	;; [unrolled: 1-line block ×3, first 2 shown]
	v_fma_f64 v[41:42], v[41:42], v[35:36], -v[81:82]
	v_fma_f64 v[62:63], v[15:16], v[35:36], v[62:63]
	v_fma_f64 v[43:44], v[43:44], v[35:36], -v[79:80]
	v_fma_f64 v[45:46], v[45:46], v[35:36], -v[83:84]
	v_fma_f64 v[66:67], v[25:26], v[35:36], v[68:69]
	ds_read2_b64 v[13:16], v70 offset1:56
	ds_read2_b64 v[23:26], v70 offset0:112 offset1:168
	v_fma_f64 v[47:48], v[47:48], v[35:36], -v[85:86]
	v_fma_f64 v[49:50], v[49:50], v[35:36], -v[87:88]
	v_fma_f64 v[68:69], v[31:32], v[35:36], v[75:76]
	v_fma_f64 v[51:52], v[51:52], v[35:36], -v[89:90]
	v_fma_f64 v[75:76], v[33:34], v[35:36], v[77:78]
	ds_read2_b64 v[31:34], v71 offset0:96 offset1:152
	v_fma_f64 v[35:36], v[53:54], v[35:36], -v[37:38]
	v_mul_u32_u24_e32 v77, 6, v74
	v_and_or_b32 v78, 0x3f0, v4, v55
	v_and_or_b32 v79, 0x2f0, v5, v55
	v_lshl_add_u32 v83, v0, 3, 0
	s_waitcnt lgkmcnt(0)
	v_lshlrev_b32_e32 v96, 4, v77
	v_add_f64 v[37:38], v[7:8], -v[60:61]
	v_add_f64 v[17:18], v[19:20], -v[17:18]
	;; [unrolled: 1-line block ×3, first 2 shown]
	v_lshl_add_u32 v86, v78, 3, 0
	v_add_f64 v[53:54], v[9:10], -v[62:63]
	v_add_f64 v[41:42], v[13:14], -v[41:42]
	;; [unrolled: 1-line block ×6, first 2 shown]
	v_lshl_add_u32 v87, v79, 3, 0
	v_add_f64 v[64:65], v[29:30], -v[68:69]
	v_add_f64 v[49:50], v[31:32], -v[49:50]
	;; [unrolled: 1-line block ×5, first 2 shown]
	v_and_or_b32 v75, 0x1f0, v2, v55
	v_and_or_b32 v76, 0x1f0, v3, v55
	;; [unrolled: 1-line block ×3, first 2 shown]
	s_barrier
	buffer_gl0_inv
	v_lshl_add_u32 v84, v75, 3, 0
	v_fma_f64 v[0:1], v[7:8], 2.0, -v[37:38]
	v_lshl_add_u32 v85, v76, 3, 0
	v_fma_f64 v[6:7], v[21:22], 2.0, -v[60:61]
	v_fma_f64 v[4:5], v[19:20], 2.0, -v[17:18]
	;; [unrolled: 1-line block ×8, first 2 shown]
	v_lshl_add_u32 v55, v55, 3, 0
	v_fma_f64 v[19:20], v[29:30], 2.0, -v[64:65]
	v_fma_f64 v[79:80], v[31:32], 2.0, -v[49:50]
	;; [unrolled: 1-line block ×5, first 2 shown]
	ds_write2_b64 v91, v[0:1], v[37:38] offset1:8
	ds_write2_b64 v83, v[2:3], v[53:54] offset1:8
	;; [unrolled: 1-line block ×7, first 2 shown]
	s_waitcnt lgkmcnt(0)
	s_barrier
	buffer_gl0_inv
	ds_read2_b64 v[0:3], v70 offset1:56
	ds_read2_b64 v[8:11], v70 offset0:112 offset1:168
	ds_read2_b64 v[26:29], v71 offset0:96 offset1:152
	;; [unrolled: 1-line block ×6, first 2 shown]
	s_waitcnt lgkmcnt(0)
	s_barrier
	buffer_gl0_inv
	ds_write2_b64 v91, v[21:22], v[41:42] offset1:8
	ds_write2_b64 v83, v[75:76], v[43:44] offset1:8
	;; [unrolled: 1-line block ×7, first 2 shown]
	s_waitcnt lgkmcnt(0)
	s_barrier
	buffer_gl0_inv
	global_load_dwordx4 v[38:41], v96, s[8:9] offset:240
	v_and_b32_e32 v75, 15, v73
	v_mul_u32_u24_e32 v16, 6, v75
	v_lshlrev_b32_e32 v42, 4, v16
	s_clause 0x7
	global_load_dwordx4 v[50:53], v42, s[8:9] offset:240
	global_load_dwordx4 v[60:63], v96, s[8:9] offset:256
	;; [unrolled: 1-line block ×8, first 2 shown]
	ds_read2_b64 v[92:95], v71 offset0:96 offset1:152
	s_clause 0x1
	global_load_dwordx4 v[16:19], v42, s[8:9] offset:224
	global_load_dwordx4 v[20:23], v42, s[8:9] offset:304
	s_waitcnt vmcnt(10) lgkmcnt(0)
	v_mul_f64 v[24:25], v[92:93], v[40:41]
	v_mul_f64 v[40:41], v[26:27], v[40:41]
	v_fma_f64 v[44:45], v[26:27], v[38:39], v[24:25]
	global_load_dwordx4 v[24:27], v42, s[8:9] offset:272
	v_fma_f64 v[48:49], v[92:93], v[38:39], -v[40:41]
	s_waitcnt vmcnt(10)
	v_mul_f64 v[38:39], v[94:95], v[52:53]
	v_fma_f64 v[40:41], v[28:29], v[50:51], v[38:39]
	v_mul_f64 v[28:29], v[28:29], v[52:53]
	s_waitcnt vmcnt(9)
	v_mul_f64 v[38:39], v[30:31], v[62:63]
	v_fma_f64 v[42:43], v[94:95], v[50:51], -v[28:29]
	ds_read2_b64 v[92:95], v57 offset0:80 offset1:136
	s_waitcnt lgkmcnt(0)
	v_mul_f64 v[28:29], v[92:93], v[62:63]
	v_fma_f64 v[54:55], v[92:93], v[60:61], -v[38:39]
	s_waitcnt vmcnt(8)
	v_mul_f64 v[46:47], v[94:95], v[66:67]
	s_waitcnt vmcnt(6)
	v_mul_f64 v[38:39], v[36:37], v[82:83]
	v_fma_f64 v[50:51], v[30:31], v[60:61], v[28:29]
	v_mul_f64 v[28:29], v[32:33], v[66:67]
	ds_read2_b64 v[60:63], v72 offset0:48 offset1:104
	v_fma_f64 v[46:47], v[32:33], v[64:65], v[46:47]
	s_waitcnt lgkmcnt(0)
	v_mul_f64 v[30:31], v[60:61], v[78:79]
	v_fma_f64 v[52:53], v[94:95], v[64:65], -v[28:29]
	v_mul_f64 v[28:29], v[34:35], v[78:79]
	v_mul_f64 v[32:33], v[62:63], v[82:83]
	v_fma_f64 v[62:63], v[62:63], v[80:81], -v[38:39]
	v_fma_f64 v[64:65], v[34:35], v[76:77], v[30:31]
	v_fma_f64 v[66:67], v[60:61], v[76:77], -v[28:29]
	ds_read2_b64 v[28:31], v70 offset0:112 offset1:168
	s_waitcnt vmcnt(5)
	v_mul_f64 v[76:77], v[8:9], v[86:87]
	v_fma_f64 v[60:61], v[36:37], v[80:81], v[32:33]
	ds_read2_b64 v[32:35], v57 offset0:192 offset1:248
	ds_read2_b64 v[36:39], v72 offset0:160 offset1:216
	s_waitcnt lgkmcnt(2)
	v_mul_f64 v[68:69], v[28:29], v[86:87]
	s_waitcnt vmcnt(4) lgkmcnt(1)
	v_mul_f64 v[78:79], v[32:33], v[90:91]
	v_fma_f64 v[8:9], v[8:9], v[84:85], v[68:69]
	v_fma_f64 v[68:69], v[28:29], v[84:85], -v[76:77]
	v_mul_f64 v[28:29], v[4:5], v[90:91]
	s_waitcnt vmcnt(3) lgkmcnt(0)
	v_mul_f64 v[76:77], v[36:37], v[98:99]
	v_fma_f64 v[4:5], v[4:5], v[88:89], v[78:79]
	s_waitcnt vmcnt(2)
	v_mul_f64 v[78:79], v[30:31], v[18:19]
	v_fma_f64 v[28:29], v[32:33], v[88:89], -v[28:29]
	v_mul_f64 v[32:33], v[12:13], v[98:99]
	v_fma_f64 v[12:13], v[12:13], v[96:97], v[76:77]
	v_fma_f64 v[78:79], v[10:11], v[16:17], v[78:79]
	v_mul_f64 v[10:11], v[10:11], v[18:19]
	v_fma_f64 v[32:33], v[36:37], v[96:97], -v[32:33]
	s_waitcnt vmcnt(1)
	v_mul_f64 v[36:37], v[38:39], v[22:23]
	v_fma_f64 v[10:11], v[30:31], v[16:17], -v[10:11]
	v_add_f64 v[30:31], v[48:49], -v[66:67]
	v_add_f64 v[48:49], v[48:49], v[66:67]
	v_add_f64 v[80:81], v[68:69], -v[32:33]
	v_add_f64 v[32:33], v[68:69], v[32:33]
	v_add_f64 v[82:83], v[48:49], v[32:33]
	s_waitcnt vmcnt(0)
	v_mul_f64 v[76:77], v[34:35], v[26:27]
	v_mul_f64 v[18:19], v[6:7], v[26:27]
	v_fma_f64 v[26:27], v[14:15], v[20:21], v[36:37]
	v_mul_f64 v[14:15], v[14:15], v[22:23]
	v_lshrrev_b32_e32 v22, 4, v56
	v_lshrrev_b32_e32 v36, 4, v73
	v_mul_u32_u24_e32 v22, 0x70, v22
	v_mul_u32_u24_e32 v23, 0x70, v36
	v_or_b32_e32 v94, v22, v74
	v_or_b32_e32 v95, v23, v75
	v_add_f64 v[22:23], v[8:9], v[12:13]
	v_add_f64 v[74:75], v[40:41], v[60:61]
	v_add_f64 v[8:9], v[8:9], -v[12:13]
	v_lshl_add_u32 v94, v94, 3, 0
	v_lshl_add_u32 v95, v95, 3, 0
	v_fma_f64 v[6:7], v[6:7], v[24:25], v[76:77]
	v_fma_f64 v[18:19], v[34:35], v[24:25], -v[18:19]
	v_add_f64 v[24:25], v[44:45], v[64:65]
	v_fma_f64 v[20:21], v[38:39], v[20:21], -v[14:15]
	v_add_f64 v[37:38], v[78:79], v[26:27]
	v_add_f64 v[34:35], v[28:29], -v[54:55]
	v_add_f64 v[76:77], v[50:51], v[4:5]
	v_add_f64 v[44:45], v[44:45], -v[64:65]
	v_add_f64 v[64:65], v[42:43], -v[62:63]
	v_add_f64 v[28:29], v[54:55], v[28:29]
	v_add_f64 v[4:5], v[4:5], -v[50:51]
	v_add_f64 v[39:40], v[40:41], -v[60:61]
	;; [unrolled: 1-line block ×3, first 2 shown]
	ds_read2_b64 v[14:17], v70 offset1:56
	s_waitcnt lgkmcnt(0)
	s_barrier
	buffer_gl0_inv
	v_add_f64 v[12:13], v[46:47], v[6:7]
	v_add_f64 v[66:67], v[18:19], -v[52:53]
	v_add_f64 v[18:19], v[52:53], v[18:19]
	v_add_f64 v[54:55], v[10:11], -v[20:21]
	v_add_f64 v[10:11], v[10:11], v[20:21]
	v_add_f64 v[20:21], v[42:43], v[62:63]
	v_add_f64 v[41:42], v[24:25], v[22:23]
	v_add_f64 v[50:51], v[74:75], v[37:38]
	v_add_f64 v[6:7], v[6:7], -v[46:47]
	v_add_f64 v[46:47], v[34:35], v[30:31]
	v_add_f64 v[52:53], v[22:23], -v[76:77]
	v_add_f64 v[22:23], v[24:25], -v[22:23]
	;; [unrolled: 1-line block ×5, first 2 shown]
	v_add_f64 v[86:87], v[4:5], v[44:45]
	v_add_f64 v[34:35], v[80:81], -v[34:35]
	v_add_f64 v[84:85], v[32:33], -v[28:29]
	v_add_f64 v[32:33], v[48:49], -v[32:33]
	v_add_f64 v[48:49], v[28:29], -v[48:49]
	v_add_f64 v[28:29], v[28:29], v[82:83]
	v_add_f64 v[62:63], v[37:38], -v[12:13]
	v_add_f64 v[37:38], v[74:75], -v[37:38]
	;; [unrolled: 1-line block ×3, first 2 shown]
	v_add_f64 v[74:75], v[66:67], v[64:65]
	v_add_f64 v[78:79], v[66:67], -v[64:65]
	v_add_f64 v[64:65], v[64:65], -v[54:55]
	v_add_f64 v[88:89], v[20:21], v[10:11]
	v_add_f64 v[41:42], v[76:77], v[41:42]
	;; [unrolled: 1-line block ×3, first 2 shown]
	v_add_f64 v[66:67], v[54:55], -v[66:67]
	v_add_f64 v[90:91], v[6:7], v[39:40]
	v_add_f64 v[76:77], v[4:5], -v[44:45]
	v_add_f64 v[4:5], v[8:9], -v[4:5]
	;; [unrolled: 1-line block ×3, first 2 shown]
	v_mul_f64 v[60:61], v[60:61], s[16:17]
	v_add_f64 v[45:46], v[46:47], v[80:81]
	v_mul_f64 v[50:51], v[30:31], s[0:1]
	v_add_f64 v[80:81], v[20:21], -v[10:11]
	v_add_f64 v[10:11], v[10:11], -v[18:19]
	;; [unrolled: 1-line block ×3, first 2 shown]
	v_mul_f64 v[52:53], v[52:53], s[12:13]
	v_mul_f64 v[82:83], v[24:25], s[20:21]
	v_add_f64 v[8:9], v[86:87], v[8:9]
	v_mul_f64 v[62:63], v[62:63], s[12:13]
	v_mul_f64 v[84:85], v[84:85], s[12:13]
	v_add_f64 v[54:55], v[74:75], v[54:55]
	v_add_f64 v[74:75], v[6:7], -v[39:40]
	v_add_f64 v[39:40], v[39:40], -v[26:27]
	v_mul_f64 v[78:79], v[78:79], s[16:17]
	v_mul_f64 v[86:87], v[64:65], s[0:1]
	v_add_f64 v[18:19], v[18:19], v[88:89]
	v_add_f64 v[0:1], v[0:1], v[41:42]
	v_mul_f64 v[88:89], v[68:69], s[20:21]
	v_add_f64 v[2:3], v[2:3], v[12:13]
	v_add_f64 v[6:7], v[26:27], -v[6:7]
	v_add_f64 v[26:27], v[90:91], v[26:27]
	v_mul_f64 v[76:77], v[76:77], s[16:17]
	v_fma_f64 v[30:31], v[30:31], s[0:1], -v[60:61]
	v_fma_f64 v[60:61], v[34:35], s[4:5], v[60:61]
	v_fma_f64 v[34:35], v[34:35], s[6:7], -v[50:51]
	v_mul_f64 v[50:51], v[43:44], s[0:1]
	v_mul_f64 v[90:91], v[48:49], s[20:21]
	v_fma_f64 v[24:25], v[24:25], s[20:21], v[52:53]
	v_fma_f64 v[52:53], v[22:23], s[14:15], -v[52:53]
	v_fma_f64 v[22:23], v[22:23], s[10:11], -v[82:83]
	v_mul_f64 v[10:11], v[10:11], s[12:13]
	v_fma_f64 v[47:48], v[48:49], s[20:21], v[84:85]
	v_mul_f64 v[74:75], v[74:75], s[16:17]
	v_mul_f64 v[82:83], v[39:40], s[0:1]
	v_fma_f64 v[64:65], v[64:65], s[0:1], -v[78:79]
	v_fma_f64 v[78:79], v[66:67], s[4:5], v[78:79]
	v_fma_f64 v[66:67], v[66:67], s[6:7], -v[86:87]
	v_add_f64 v[86:87], v[14:15], v[28:29]
	v_add_f64 v[92:93], v[16:17], v[18:19]
	v_mul_f64 v[14:15], v[20:21], s[20:21]
	v_fma_f64 v[16:17], v[41:42], s[22:23], v[0:1]
	v_fma_f64 v[41:42], v[68:69], s[20:21], v[62:63]
	v_fma_f64 v[62:63], v[37:38], s[14:15], -v[62:63]
	v_fma_f64 v[37:38], v[37:38], s[10:11], -v[88:89]
	v_fma_f64 v[12:13], v[12:13], s[22:23], v[2:3]
	v_fma_f64 v[43:44], v[43:44], s[0:1], -v[76:77]
	v_fma_f64 v[68:69], v[4:5], s[4:5], v[76:77]
	v_fma_f64 v[4:5], v[4:5], s[6:7], -v[50:51]
	v_fma_f64 v[49:50], v[32:33], s[14:15], -v[84:85]
	;; [unrolled: 1-line block ×3, first 2 shown]
	v_fma_f64 v[60:61], v[45:46], s[18:19], v[60:61]
	v_fma_f64 v[20:21], v[20:21], s[20:21], v[10:11]
	v_fma_f64 v[10:11], v[80:81], s[14:15], -v[10:11]
	v_fma_f64 v[30:31], v[45:46], s[18:19], v[30:31]
	v_fma_f64 v[39:40], v[39:40], s[0:1], -v[74:75]
	;; [unrolled: 2-line block ×3, first 2 shown]
	v_fma_f64 v[34:35], v[45:46], s[18:19], v[34:35]
	v_fma_f64 v[28:29], v[28:29], s[22:23], v[86:87]
	;; [unrolled: 1-line block ×3, first 2 shown]
	v_fma_f64 v[14:15], v[80:81], s[10:11], -v[14:15]
	v_add_f64 v[22:23], v[22:23], v[16:17]
	v_add_f64 v[45:46], v[52:53], v[16:17]
	v_add_f64 v[16:17], v[24:25], v[16:17]
	v_fma_f64 v[51:52], v[54:55], s[18:19], v[78:79]
	v_fma_f64 v[24:25], v[54:55], s[18:19], v[64:65]
	v_add_f64 v[37:38], v[37:38], v[12:13]
	v_add_f64 v[41:42], v[41:42], v[12:13]
	v_fma_f64 v[53:54], v[54:55], s[18:19], v[66:67]
	v_add_f64 v[12:13], v[62:63], v[12:13]
	v_fma_f64 v[62:63], v[8:9], s[18:19], v[68:69]
	v_fma_f64 v[43:44], v[8:9], s[18:19], v[43:44]
	;; [unrolled: 1-line block ×6, first 2 shown]
	v_add_f64 v[32:33], v[32:33], v[28:29]
	v_add_f64 v[49:50], v[49:50], v[28:29]
	;; [unrolled: 1-line block ×6, first 2 shown]
	v_add_f64 v[20:21], v[22:23], -v[30:31]
	v_add_f64 v[22:23], v[30:31], v[22:23]
	v_add_f64 v[28:29], v[34:35], v[45:46]
	v_add_f64 v[30:31], v[45:46], -v[34:35]
	v_add_f64 v[34:35], v[60:61], v[16:17]
	v_add_f64 v[16:17], v[16:17], -v[60:61]
	v_add_f64 v[45:46], v[37:38], -v[24:25]
	v_add_f64 v[24:25], v[24:25], v[37:38]
	v_add_f64 v[37:38], v[51:52], v[41:42]
	;; [unrolled: 1-line block ×3, first 2 shown]
	v_add_f64 v[12:13], v[12:13], -v[53:54]
	v_add_f64 v[41:42], v[41:42], -v[51:52]
	ds_write2_b64 v94, v[0:1], v[34:35] offset1:16
	ds_write2_b64 v94, v[28:29], v[20:21] offset0:32 offset1:48
	ds_write2_b64 v94, v[22:23], v[30:31] offset0:64 offset1:80
	ds_write_b64 v94, v[16:17] offset:768
	ds_write2_b64 v95, v[2:3], v[37:38] offset1:16
	ds_write2_b64 v95, v[47:48], v[45:46] offset0:32 offset1:48
	ds_write2_b64 v95, v[24:25], v[12:13] offset0:64 offset1:80
	ds_write_b64 v95, v[41:42] offset:768
	v_add_f64 v[51:52], v[43:44], v[32:33]
	v_add_f64 v[32:33], v[32:33], -v[43:44]
	v_add_f64 v[43:44], v[49:50], -v[4:5]
	v_add_f64 v[49:50], v[4:5], v[49:50]
	v_add_f64 v[53:54], v[26:27], -v[62:63]
	v_add_f64 v[60:61], v[62:63], v[26:27]
	v_add_f64 v[62:63], v[39:40], v[14:15]
	v_add_f64 v[39:40], v[14:15], -v[39:40]
	v_add_f64 v[64:65], v[10:11], -v[6:7]
	v_add_f64 v[66:67], v[6:7], v[10:11]
	v_add_f64 v[68:69], v[18:19], -v[8:9]
	v_add_f64 v[74:75], v[8:9], v[18:19]
	s_waitcnt lgkmcnt(0)
	s_barrier
	buffer_gl0_inv
	ds_read2_b64 v[0:3], v70 offset1:56
	ds_read2_b64 v[20:23], v70 offset0:112 offset1:168
	ds_read2_b64 v[12:15], v71 offset0:96 offset1:152
	;; [unrolled: 1-line block ×6, first 2 shown]
	s_waitcnt lgkmcnt(0)
	s_barrier
	buffer_gl0_inv
	ds_write2_b64 v94, v[86:87], v[53:54] offset1:16
	ds_write2_b64 v94, v[43:44], v[51:52] offset0:32 offset1:48
	ds_write2_b64 v94, v[32:33], v[49:50] offset0:64 offset1:80
	ds_write_b64 v94, v[60:61] offset:768
	ds_write2_b64 v95, v[92:93], v[68:69] offset1:16
	ds_write2_b64 v95, v[64:65], v[62:63] offset0:32 offset1:48
	ds_write2_b64 v95, v[39:40], v[66:67] offset0:64 offset1:80
	ds_write_b64 v95, v[74:75] offset:768
	s_waitcnt lgkmcnt(0)
	s_barrier
	buffer_gl0_inv
	s_and_saveexec_b32 s24, vcc_lo
	s_cbranch_execz .LBB0_13
; %bb.12:
	v_mul_u32_u24_e32 v28, 6, v73
	v_mul_u32_u24_e32 v32, 6, v56
	v_mul_hi_u32 v36, 0x24924925, v36
	v_lshlrev_b32_e32 v55, 4, v28
	v_lshlrev_b32_e32 v68, 4, v32
	s_clause 0x5
	global_load_dwordx4 v[28:31], v55, s[8:9] offset:1840
	global_load_dwordx4 v[32:35], v68, s[8:9] offset:1840
	;; [unrolled: 1-line block ×6, first 2 shown]
	ds_read2_b64 v[60:63], v72 offset0:160 offset1:216
	s_clause 0x4
	global_load_dwordx4 v[64:67], v55, s[8:9] offset:1776
	global_load_dwordx4 v[73:76], v68, s[8:9] offset:1776
	;; [unrolled: 1-line block ×5, first 2 shown]
	v_add_co_u32 v55, vcc_lo, s2, v58
	v_add_co_ci_u32_e32 v59, vcc_lo, s3, v59, vcc_lo
	s_waitcnt vmcnt(10) lgkmcnt(0)
	v_mul_f64 v[53:54], v[30:31], v[62:63]
	v_mul_f64 v[30:31], v[26:27], v[30:31]
	v_fma_f64 v[53:54], v[26:27], v[28:29], v[53:54]
	v_fma_f64 v[62:63], v[28:29], v[62:63], -v[30:31]
	global_load_dwordx4 v[26:29], v68, s[8:9] offset:1792
	s_waitcnt vmcnt(10)
	v_mul_f64 v[30:31], v[34:35], v[60:61]
	v_fma_f64 v[68:69], v[24:25], v[32:33], v[30:31]
	v_mul_f64 v[24:25], v[24:25], v[34:35]
	v_fma_f64 v[34:35], v[32:33], v[60:61], -v[24:25]
	ds_read2_b64 v[30:33], v70 offset0:112 offset1:168
	s_waitcnt vmcnt(9) lgkmcnt(0)
	v_mul_f64 v[24:25], v[39:40], v[32:33]
	v_mul_f64 v[39:40], v[22:23], v[39:40]
	s_waitcnt vmcnt(8)
	v_mul_f64 v[60:61], v[43:44], v[30:31]
	v_fma_f64 v[89:90], v[22:23], v[37:38], v[24:25]
	v_fma_f64 v[37:38], v[37:38], v[32:33], -v[39:40]
	ds_read2_b64 v[22:25], v72 offset0:48 offset1:104
	v_mul_f64 v[32:33], v[20:21], v[43:44]
	v_fma_f64 v[39:40], v[20:21], v[41:42], v[60:61]
	s_waitcnt vmcnt(7)
	v_mul_f64 v[43:44], v[18:19], v[47:48]
	s_waitcnt lgkmcnt(0)
	v_mul_f64 v[20:21], v[47:48], v[24:25]
	s_waitcnt vmcnt(6)
	v_mul_f64 v[47:48], v[51:52], v[22:23]
	v_mul_f64 v[51:52], v[16:17], v[51:52]
	v_fma_f64 v[41:42], v[41:42], v[30:31], -v[32:33]
	ds_read2_b64 v[30:33], v71 offset0:96 offset1:152
	v_fma_f64 v[43:44], v[45:46], v[24:25], -v[43:44]
	v_fma_f64 v[60:61], v[18:19], v[45:46], v[20:21]
	v_fma_f64 v[16:17], v[16:17], v[49:50], v[47:48]
	s_waitcnt vmcnt(5) lgkmcnt(0)
	v_mul_f64 v[45:46], v[66:67], v[32:33]
	v_mul_f64 v[47:48], v[14:15], v[66:67]
	v_fma_f64 v[49:50], v[49:50], v[22:23], -v[51:52]
	s_waitcnt vmcnt(4)
	v_mul_f64 v[51:52], v[75:76], v[30:31]
	v_mul_f64 v[66:67], v[12:13], v[75:76]
	ds_read2_b64 v[18:21], v57 offset0:80 offset1:136
	ds_read2_b64 v[22:25], v57 offset0:192 offset1:248
	v_mov_b32_e32 v57, 0
	v_fma_f64 v[45:46], v[14:15], v[64:65], v[45:46]
	v_fma_f64 v[32:33], v[64:65], v[32:33], -v[47:48]
	s_waitcnt vmcnt(3)
	v_mul_f64 v[14:15], v[6:7], v[79:80]
	s_waitcnt lgkmcnt(1)
	v_mul_f64 v[71:72], v[79:80], v[20:21]
	s_waitcnt vmcnt(2) lgkmcnt(0)
	v_mul_f64 v[47:48], v[83:84], v[24:25]
	v_fma_f64 v[51:52], v[12:13], v[73:74], v[51:52]
	v_mul_f64 v[64:65], v[10:11], v[83:84]
	s_waitcnt vmcnt(1)
	v_mul_f64 v[75:76], v[87:88], v[22:23]
	v_fma_f64 v[30:31], v[73:74], v[30:31], -v[66:67]
	v_mul_f64 v[73:74], v[8:9], v[87:88]
	v_fma_f64 v[20:21], v[77:78], v[20:21], -v[14:15]
	v_fma_f64 v[6:7], v[6:7], v[77:78], v[71:72]
	v_fma_f64 v[10:11], v[10:11], v[81:82], v[47:48]
	v_add_f64 v[47:48], v[89:90], v[53:54]
	v_fma_f64 v[24:25], v[81:82], v[24:25], -v[64:65]
	v_fma_f64 v[8:9], v[8:9], v[85:86], v[75:76]
	v_add_f64 v[76:77], v[51:52], v[16:17]
	v_fma_f64 v[22:23], v[85:86], v[22:23], -v[73:74]
	v_add_f64 v[72:73], v[30:31], v[49:50]
	v_add_f64 v[74:75], v[39:40], v[68:69]
	;; [unrolled: 1-line block ×3, first 2 shown]
	v_add_f64 v[53:54], v[89:90], -v[53:54]
	v_add_f64 v[45:46], v[45:46], -v[60:61]
	ds_read2_b64 v[12:15], v70 offset1:56
	v_lshlrev_b64 v[70:71], 4, v[56:57]
	v_mul_u32_u24_e32 v56, 0x2a0, v36
	v_add_f64 v[16:17], v[51:52], -v[16:17]
	v_add_co_u32 v58, vcc_lo, v55, v70
	v_add_co_ci_u32_e32 v59, vcc_lo, v59, v71, vcc_lo
	v_add_f64 v[78:79], v[10:11], -v[6:7]
	v_add_f64 v[6:7], v[10:11], v[6:7]
	v_add_f64 v[60:61], v[24:25], v[20:21]
	v_lshlrev_b64 v[55:56], 4, v[56:57]
	v_add_co_u32 v70, vcc_lo, 0x800, v58
	v_add_co_ci_u32_e32 v71, vcc_lo, 0, v59, vcc_lo
	v_add_f64 v[88:89], v[74:75], v[76:77]
	v_add_co_u32 v90, vcc_lo, 0x1000, v58
	v_add_co_ci_u32_e32 v91, vcc_lo, 0, v59, vcc_lo
	v_add_f64 v[84:85], v[47:48], v[64:65]
	v_add_f64 v[20:21], v[24:25], -v[20:21]
	v_add_f64 v[24:25], v[32:33], -v[43:44]
	s_waitcnt vmcnt(0)
	v_mul_f64 v[66:67], v[28:29], v[18:19]
	v_mul_f64 v[28:29], v[4:5], v[28:29]
	v_fma_f64 v[4:5], v[4:5], v[26:27], v[66:67]
	v_fma_f64 v[18:19], v[26:27], v[18:19], -v[28:29]
	v_add_f64 v[26:27], v[37:38], v[62:63]
	v_add_f64 v[28:29], v[32:33], v[43:44]
	;; [unrolled: 1-line block ×3, first 2 shown]
	v_add_f64 v[36:37], v[37:38], -v[62:63]
	v_add_co_u32 v62, vcc_lo, v58, v55
	v_add_co_ci_u32_e32 v63, vcc_lo, v59, v56, vcc_lo
	v_add_f64 v[32:33], v[39:40], -v[68:69]
	v_add_f64 v[34:35], v[41:42], -v[34:35]
	;; [unrolled: 1-line block ×3, first 2 shown]
	v_add_f64 v[55:56], v[78:79], v[45:46]
	v_add_f64 v[44:45], v[45:46], -v[53:54]
	v_add_f64 v[42:43], v[6:7], v[84:85]
	v_add_f64 v[80:81], v[8:9], v[4:5]
	;; [unrolled: 1-line block ×3, first 2 shown]
	v_add_f64 v[4:5], v[8:9], -v[4:5]
	v_add_f64 v[82:83], v[26:27], v[28:29]
	v_add_f64 v[86:87], v[66:67], v[72:73]
	v_add_f64 v[18:19], v[22:23], -v[18:19]
	v_add_f64 v[22:23], v[30:31], -v[49:50]
	;; [unrolled: 1-line block ×7, first 2 shown]
	v_mul_f64 v[38:39], v[38:39], s[16:17]
	v_add_f64 v[53:54], v[53:54], v[55:56]
	v_add_f64 v[2:3], v[2:3], v[42:43]
	;; [unrolled: 1-line block ×3, first 2 shown]
	v_add_f64 v[92:93], v[66:67], -v[10:11]
	v_add_f64 v[88:89], v[4:5], v[16:17]
	v_add_f64 v[40:41], v[60:61], v[82:83]
	;; [unrolled: 1-line block ×3, first 2 shown]
	v_add_f64 v[60:61], v[60:61], -v[28:29]
	v_add_f64 v[82:83], v[6:7], -v[64:65]
	v_add_f64 v[86:87], v[20:21], -v[24:25]
	v_add_f64 v[28:29], v[64:65], -v[47:48]
	v_add_f64 v[46:47], v[32:33], -v[4:5]
	v_add_f64 v[64:65], v[4:5], -v[16:17]
	v_add_f64 v[10:11], v[10:11], -v[72:73]
	v_add_f64 v[94:95], v[74:75], -v[80:81]
	v_add_f64 v[66:67], v[72:73], -v[66:67]
	v_add_f64 v[72:73], v[18:19], -v[22:23]
	v_add_f64 v[74:75], v[76:77], -v[74:75]
	v_add_f64 v[20:21], v[20:21], v[24:25]
	v_add_f64 v[24:25], v[24:25], -v[36:37]
	v_fma_f64 v[42:43], v[42:43], s[22:23], v[2:3]
	v_add_f64 v[6:7], v[0:1], v[51:52]
	v_add_f64 v[0:1], v[18:19], v[22:23]
	v_add_f64 v[22:23], v[22:23], -v[34:35]
	s_waitcnt lgkmcnt(0)
	v_add_f64 v[4:5], v[14:15], v[40:41]
	v_add_f64 v[8:9], v[12:13], v[49:50]
	v_add_f64 v[12:13], v[16:17], -v[32:33]
	v_mul_f64 v[14:15], v[60:61], s[20:21]
	v_mul_f64 v[16:17], v[68:69], s[12:13]
	v_add_f64 v[60:61], v[80:81], -v[76:77]
	v_mul_f64 v[76:77], v[44:45], s[0:1]
	v_mul_f64 v[55:56], v[82:83], s[20:21]
	;; [unrolled: 1-line block ×3, first 2 shown]
	v_add_f64 v[18:19], v[34:35], -v[18:19]
	v_mul_f64 v[82:83], v[86:87], s[16:17]
	v_mul_f64 v[10:11], v[10:11], s[20:21]
	;; [unrolled: 1-line block ×5, first 2 shown]
	v_add_f64 v[20:21], v[36:37], v[20:21]
	v_mul_f64 v[36:37], v[24:25], s[0:1]
	v_add_f64 v[32:33], v[32:33], v[88:89]
	v_add_co_u32 v88, vcc_lo, 0x1800, v58
	v_add_f64 v[0:1], v[34:35], v[0:1]
	v_add_co_ci_u32_e32 v89, vcc_lo, 0, v59, vcc_lo
	v_fma_f64 v[48:49], v[49:50], s[22:23], v[8:9]
	v_mul_f64 v[34:35], v[12:13], s[0:1]
	v_fma_f64 v[68:69], v[68:69], s[12:13], v[14:15]
	v_fma_f64 v[16:17], v[26:27], s[14:15], -v[16:17]
	v_fma_f64 v[14:15], v[26:27], s[10:11], -v[14:15]
	v_mul_f64 v[26:27], v[94:95], s[12:13]
	v_mul_f64 v[60:61], v[60:61], s[20:21]
	v_fma_f64 v[76:77], v[30:31], s[6:7], -v[76:77]
	v_fma_f64 v[30:31], v[30:31], s[4:5], v[38:39]
	v_fma_f64 v[38:39], v[44:45], s[0:1], -v[38:39]
	v_mul_f64 v[44:45], v[22:23], s[0:1]
	v_fma_f64 v[78:79], v[78:79], s[12:13], v[55:56]
	v_fma_f64 v[80:81], v[28:29], s[14:15], -v[80:81]
	v_fma_f64 v[28:29], v[28:29], s[10:11], -v[55:56]
	v_fma_f64 v[55:56], v[92:93], s[12:13], v[10:11]
	v_fma_f64 v[86:87], v[66:67], s[14:15], -v[86:87]
	v_fma_f64 v[22:23], v[22:23], s[0:1], -v[72:73]
	v_fma_f64 v[50:51], v[51:52], s[22:23], v[6:7]
	v_fma_f64 v[10:11], v[66:67], s[10:11], -v[10:11]
	v_fma_f64 v[12:13], v[12:13], s[0:1], -v[64:65]
	v_fma_f64 v[36:37], v[84:85], s[6:7], -v[36:37]
	v_fma_f64 v[84:85], v[84:85], s[4:5], v[82:83]
	v_fma_f64 v[40:41], v[40:41], s[22:23], v[4:5]
	v_fma_f64 v[34:35], v[46:47], s[6:7], -v[34:35]
	v_fma_f64 v[46:47], v[46:47], s[4:5], v[64:65]
	v_fma_f64 v[24:25], v[24:25], s[0:1], -v[82:83]
	v_add_co_u32 v66, vcc_lo, 0x2000, v58
	v_fma_f64 v[92:93], v[94:95], s[12:13], v[60:61]
	v_fma_f64 v[26:27], v[74:75], s[14:15], -v[26:27]
	v_fma_f64 v[60:61], v[74:75], s[10:11], -v[60:61]
	v_fma_f64 v[82:83], v[53:54], s[18:19], v[30:31]
	v_fma_f64 v[44:45], v[18:19], s[6:7], -v[44:45]
	v_fma_f64 v[18:19], v[18:19], s[4:5], v[72:73]
	v_fma_f64 v[76:77], v[53:54], s[18:19], v[76:77]
	;; [unrolled: 1-line block ×3, first 2 shown]
	v_add_f64 v[52:53], v[55:56], v[48:49]
	v_add_f64 v[86:87], v[86:87], v[48:49]
	v_fma_f64 v[94:95], v[0:1], s[18:19], v[22:23]
	v_add_f64 v[78:79], v[78:79], v[42:43]
	v_add_f64 v[10:11], v[10:11], v[48:49]
	;; [unrolled: 1-line block ×4, first 2 shown]
	v_add_co_ci_u32_e32 v67, vcc_lo, 0, v59, vcc_lo
	v_fma_f64 v[30:31], v[32:33], s[18:19], v[34:35]
	v_fma_f64 v[46:47], v[32:33], s[18:19], v[46:47]
	v_add_f64 v[68:69], v[68:69], v[40:41]
	v_add_f64 v[96:97], v[16:17], v[40:41]
	;; [unrolled: 1-line block ×3, first 2 shown]
	v_add_co_u32 v64, vcc_lo, 0x2800, v58
	v_add_f64 v[98:99], v[26:27], v[50:51]
	v_add_f64 v[26:27], v[60:61], v[50:51]
	v_fma_f64 v[34:35], v[0:1], s[18:19], v[44:45]
	v_fma_f64 v[0:1], v[0:1], s[18:19], v[18:19]
	v_add_f64 v[50:51], v[92:93], v[50:51]
	v_fma_f64 v[44:45], v[32:33], s[18:19], v[12:13]
	v_fma_f64 v[60:61], v[20:21], s[18:19], v[84:85]
	;; [unrolled: 1-line block ×4, first 2 shown]
	v_add_co_ci_u32_e32 v65, vcc_lo, 0, v59, vcc_lo
	v_add_co_u32 v74, vcc_lo, 0x380, v62
	v_add_co_ci_u32_e32 v75, vcc_lo, 0, v63, vcc_lo
	v_add_f64 v[20:21], v[30:31], v[86:87]
	v_add_f64 v[32:33], v[86:87], -v[30:31]
	v_add_f64 v[36:37], v[52:53], -v[46:47]
	v_add_f64 v[52:53], v[46:47], v[52:53]
	v_add_f64 v[56:57], v[68:69], -v[82:83]
	v_add_f64 v[48:49], v[96:97], -v[76:77]
	v_add_co_u32 v72, vcc_lo, 0x1000, v62
	v_add_f64 v[22:23], v[94:95], v[26:27]
	v_add_f64 v[18:19], v[98:99], -v[34:35]
	v_add_f64 v[30:31], v[34:35], v[98:99]
	v_add_f64 v[34:35], v[0:1], v[50:51]
	;; [unrolled: 1-line block ×3, first 2 shown]
	v_add_f64 v[26:27], v[26:27], -v[94:95]
	v_add_f64 v[24:25], v[10:11], -v[44:45]
	;; [unrolled: 1-line block ×3, first 2 shown]
	v_add_f64 v[54:55], v[60:61], v[78:79]
	v_add_f64 v[46:47], v[84:85], v[80:81]
	;; [unrolled: 1-line block ×3, first 2 shown]
	v_add_f64 v[42:43], v[100:101], -v[92:93]
	v_add_f64 v[40:41], v[14:15], -v[38:39]
	v_add_f64 v[38:39], v[92:93], v[100:101]
	v_add_f64 v[16:17], v[76:77], v[96:97]
	v_add_f64 v[14:15], v[80:81], -v[84:85]
	v_add_co_ci_u32_e32 v73, vcc_lo, 0, v63, vcc_lo
	v_add_f64 v[12:13], v[82:83], v[68:69]
	v_add_f64 v[10:11], v[78:79], -v[60:61]
	v_add_co_u32 v102, vcc_lo, 0x1800, v62
	v_add_co_ci_u32_e32 v103, vcc_lo, 0, v63, vcc_lo
	v_add_co_u32 v0, vcc_lo, 0x2000, v62
	v_add_co_ci_u32_e32 v1, vcc_lo, 0, v63, vcc_lo
	;; [unrolled: 2-line block ×3, first 2 shown]
	global_store_dwordx4 v[58:59], v[6:9], off
	global_store_dwordx4 v[58:59], v[34:37], off offset:1792
	global_store_dwordx4 v[70:71], v[30:33], off offset:1536
	global_store_dwordx4 v[90:91], v[26:29], off offset:1280
	global_store_dwordx4 v[88:89], v[22:25], off offset:1024
	global_store_dwordx4 v[66:67], v[18:21], off offset:768
	global_store_dwordx4 v[64:65], v[50:53], off offset:512
	global_store_dwordx4 v[62:63], v[2:5], off offset:896
	global_store_dwordx4 v[74:75], v[54:57], off offset:1792
	global_store_dwordx4 v[72:73], v[46:49], off offset:384
	global_store_dwordx4 v[102:103], v[42:45], off offset:128
	global_store_dwordx4 v[102:103], v[38:41], off offset:1920
	global_store_dwordx4 v[0:1], v[14:17], off offset:1664
	global_store_dwordx4 v[60:61], v[10:13], off offset:1408
.LBB0_13:
	s_endpgm
	.section	.rodata,"a",@progbits
	.p2align	6, 0x0
	.amdhsa_kernel fft_rtc_back_len784_factors_2_2_2_2_7_7_wgs_56_tpt_56_halfLds_dp_ip_CI_unitstride_sbrr_dirReg
		.amdhsa_group_segment_fixed_size 0
		.amdhsa_private_segment_fixed_size 0
		.amdhsa_kernarg_size 88
		.amdhsa_user_sgpr_count 6
		.amdhsa_user_sgpr_private_segment_buffer 1
		.amdhsa_user_sgpr_dispatch_ptr 0
		.amdhsa_user_sgpr_queue_ptr 0
		.amdhsa_user_sgpr_kernarg_segment_ptr 1
		.amdhsa_user_sgpr_dispatch_id 0
		.amdhsa_user_sgpr_flat_scratch_init 0
		.amdhsa_user_sgpr_private_segment_size 0
		.amdhsa_wavefront_size32 1
		.amdhsa_uses_dynamic_stack 0
		.amdhsa_system_sgpr_private_segment_wavefront_offset 0
		.amdhsa_system_sgpr_workgroup_id_x 1
		.amdhsa_system_sgpr_workgroup_id_y 0
		.amdhsa_system_sgpr_workgroup_id_z 0
		.amdhsa_system_sgpr_workgroup_info 0
		.amdhsa_system_vgpr_workitem_id 0
		.amdhsa_next_free_vgpr 104
		.amdhsa_next_free_sgpr 25
		.amdhsa_reserve_vcc 1
		.amdhsa_reserve_flat_scratch 0
		.amdhsa_float_round_mode_32 0
		.amdhsa_float_round_mode_16_64 0
		.amdhsa_float_denorm_mode_32 3
		.amdhsa_float_denorm_mode_16_64 3
		.amdhsa_dx10_clamp 1
		.amdhsa_ieee_mode 1
		.amdhsa_fp16_overflow 0
		.amdhsa_workgroup_processor_mode 1
		.amdhsa_memory_ordered 1
		.amdhsa_forward_progress 0
		.amdhsa_shared_vgpr_count 0
		.amdhsa_exception_fp_ieee_invalid_op 0
		.amdhsa_exception_fp_denorm_src 0
		.amdhsa_exception_fp_ieee_div_zero 0
		.amdhsa_exception_fp_ieee_overflow 0
		.amdhsa_exception_fp_ieee_underflow 0
		.amdhsa_exception_fp_ieee_inexact 0
		.amdhsa_exception_int_div_zero 0
	.end_amdhsa_kernel
	.text
.Lfunc_end0:
	.size	fft_rtc_back_len784_factors_2_2_2_2_7_7_wgs_56_tpt_56_halfLds_dp_ip_CI_unitstride_sbrr_dirReg, .Lfunc_end0-fft_rtc_back_len784_factors_2_2_2_2_7_7_wgs_56_tpt_56_halfLds_dp_ip_CI_unitstride_sbrr_dirReg
                                        ; -- End function
	.section	.AMDGPU.csdata,"",@progbits
; Kernel info:
; codeLenInByte = 9404
; NumSgprs: 27
; NumVgprs: 104
; ScratchSize: 0
; MemoryBound: 1
; FloatMode: 240
; IeeeMode: 1
; LDSByteSize: 0 bytes/workgroup (compile time only)
; SGPRBlocks: 3
; VGPRBlocks: 12
; NumSGPRsForWavesPerEU: 27
; NumVGPRsForWavesPerEU: 104
; Occupancy: 9
; WaveLimiterHint : 1
; COMPUTE_PGM_RSRC2:SCRATCH_EN: 0
; COMPUTE_PGM_RSRC2:USER_SGPR: 6
; COMPUTE_PGM_RSRC2:TRAP_HANDLER: 0
; COMPUTE_PGM_RSRC2:TGID_X_EN: 1
; COMPUTE_PGM_RSRC2:TGID_Y_EN: 0
; COMPUTE_PGM_RSRC2:TGID_Z_EN: 0
; COMPUTE_PGM_RSRC2:TIDIG_COMP_CNT: 0
	.text
	.p2alignl 6, 3214868480
	.fill 48, 4, 3214868480
	.type	__hip_cuid_4ec442657b9712fc,@object ; @__hip_cuid_4ec442657b9712fc
	.section	.bss,"aw",@nobits
	.globl	__hip_cuid_4ec442657b9712fc
__hip_cuid_4ec442657b9712fc:
	.byte	0                               ; 0x0
	.size	__hip_cuid_4ec442657b9712fc, 1

	.ident	"AMD clang version 19.0.0git (https://github.com/RadeonOpenCompute/llvm-project roc-6.4.0 25133 c7fe45cf4b819c5991fe208aaa96edf142730f1d)"
	.section	".note.GNU-stack","",@progbits
	.addrsig
	.addrsig_sym __hip_cuid_4ec442657b9712fc
	.amdgpu_metadata
---
amdhsa.kernels:
  - .args:
      - .actual_access:  read_only
        .address_space:  global
        .offset:         0
        .size:           8
        .value_kind:     global_buffer
      - .offset:         8
        .size:           8
        .value_kind:     by_value
      - .actual_access:  read_only
        .address_space:  global
        .offset:         16
        .size:           8
        .value_kind:     global_buffer
      - .actual_access:  read_only
        .address_space:  global
        .offset:         24
        .size:           8
        .value_kind:     global_buffer
      - .offset:         32
        .size:           8
        .value_kind:     by_value
      - .actual_access:  read_only
        .address_space:  global
        .offset:         40
        .size:           8
        .value_kind:     global_buffer
      - .actual_access:  read_only
        .address_space:  global
        .offset:         48
        .size:           8
        .value_kind:     global_buffer
      - .offset:         56
        .size:           4
        .value_kind:     by_value
      - .actual_access:  read_only
        .address_space:  global
        .offset:         64
        .size:           8
        .value_kind:     global_buffer
      - .actual_access:  read_only
        .address_space:  global
        .offset:         72
        .size:           8
        .value_kind:     global_buffer
      - .address_space:  global
        .offset:         80
        .size:           8
        .value_kind:     global_buffer
    .group_segment_fixed_size: 0
    .kernarg_segment_align: 8
    .kernarg_segment_size: 88
    .language:       OpenCL C
    .language_version:
      - 2
      - 0
    .max_flat_workgroup_size: 56
    .name:           fft_rtc_back_len784_factors_2_2_2_2_7_7_wgs_56_tpt_56_halfLds_dp_ip_CI_unitstride_sbrr_dirReg
    .private_segment_fixed_size: 0
    .sgpr_count:     27
    .sgpr_spill_count: 0
    .symbol:         fft_rtc_back_len784_factors_2_2_2_2_7_7_wgs_56_tpt_56_halfLds_dp_ip_CI_unitstride_sbrr_dirReg.kd
    .uniform_work_group_size: 1
    .uses_dynamic_stack: false
    .vgpr_count:     104
    .vgpr_spill_count: 0
    .wavefront_size: 32
    .workgroup_processor_mode: 1
amdhsa.target:   amdgcn-amd-amdhsa--gfx1030
amdhsa.version:
  - 1
  - 2
...

	.end_amdgpu_metadata
